;; amdgpu-corpus repo=ROCm/rocFFT kind=compiled arch=gfx950 opt=O3
	.text
	.amdgcn_target "amdgcn-amd-amdhsa--gfx950"
	.amdhsa_code_object_version 6
	.protected	fft_rtc_fwd_len1458_factors_6_3_3_3_3_3_wgs_243_tpt_243_halfLds_dp_ip_CI_unitstride_sbrr_C2R_dirReg ; -- Begin function fft_rtc_fwd_len1458_factors_6_3_3_3_3_3_wgs_243_tpt_243_halfLds_dp_ip_CI_unitstride_sbrr_C2R_dirReg
	.globl	fft_rtc_fwd_len1458_factors_6_3_3_3_3_3_wgs_243_tpt_243_halfLds_dp_ip_CI_unitstride_sbrr_C2R_dirReg
	.p2align	8
	.type	fft_rtc_fwd_len1458_factors_6_3_3_3_3_3_wgs_243_tpt_243_halfLds_dp_ip_CI_unitstride_sbrr_C2R_dirReg,@function
fft_rtc_fwd_len1458_factors_6_3_3_3_3_3_wgs_243_tpt_243_halfLds_dp_ip_CI_unitstride_sbrr_C2R_dirReg: ; @fft_rtc_fwd_len1458_factors_6_3_3_3_3_3_wgs_243_tpt_243_halfLds_dp_ip_CI_unitstride_sbrr_C2R_dirReg
; %bb.0:
	s_load_dwordx2 s[8:9], s[0:1], 0x50
	s_load_dwordx4 s[4:7], s[0:1], 0x0
	s_load_dwordx2 s[10:11], s[0:1], 0x18
	v_mul_u32_u24_e32 v1, 0x10e, v0
	v_add_u32_sdwa v6, s2, v1 dst_sel:DWORD dst_unused:UNUSED_PAD src0_sel:DWORD src1_sel:WORD_1
	v_mov_b32_e32 v4, 0
	s_waitcnt lgkmcnt(0)
	v_cmp_lt_u64_e64 s[2:3], s[6:7], 2
	v_mov_b32_e32 v7, v4
	s_and_b64 vcc, exec, s[2:3]
	v_mov_b64_e32 v[2:3], 0
	s_cbranch_vccnz .LBB0_8
; %bb.1:
	s_load_dwordx2 s[2:3], s[0:1], 0x10
	s_add_u32 s12, s10, 8
	s_addc_u32 s13, s11, 0
	s_mov_b64 s[14:15], 1
	v_mov_b64_e32 v[2:3], 0
	s_waitcnt lgkmcnt(0)
	s_add_u32 s16, s2, 8
	s_addc_u32 s17, s3, 0
.LBB0_2:                                ; =>This Inner Loop Header: Depth=1
	s_load_dwordx2 s[18:19], s[16:17], 0x0
                                        ; implicit-def: $vgpr8_vgpr9
	s_waitcnt lgkmcnt(0)
	v_or_b32_e32 v5, s19, v7
	v_cmp_ne_u64_e32 vcc, 0, v[4:5]
	s_and_saveexec_b64 s[2:3], vcc
	s_xor_b64 s[20:21], exec, s[2:3]
	s_cbranch_execz .LBB0_4
; %bb.3:                                ;   in Loop: Header=BB0_2 Depth=1
	v_cvt_f32_u32_e32 v1, s18
	v_cvt_f32_u32_e32 v5, s19
	s_sub_u32 s2, 0, s18
	s_subb_u32 s3, 0, s19
	v_fmac_f32_e32 v1, 0x4f800000, v5
	v_rcp_f32_e32 v1, v1
	s_nop 0
	v_mul_f32_e32 v1, 0x5f7ffffc, v1
	v_mul_f32_e32 v5, 0x2f800000, v1
	v_trunc_f32_e32 v5, v5
	v_fmac_f32_e32 v1, 0xcf800000, v5
	v_cvt_u32_f32_e32 v5, v5
	v_cvt_u32_f32_e32 v1, v1
	v_mul_lo_u32 v8, s2, v5
	v_mul_hi_u32 v10, s2, v1
	v_mul_lo_u32 v9, s3, v1
	v_add_u32_e32 v10, v10, v8
	v_mul_lo_u32 v12, s2, v1
	v_add_u32_e32 v13, v10, v9
	v_mul_hi_u32 v8, v1, v12
	v_mul_hi_u32 v11, v1, v13
	v_mul_lo_u32 v10, v1, v13
	v_mov_b32_e32 v9, v4
	v_lshl_add_u64 v[8:9], v[8:9], 0, v[10:11]
	v_mul_hi_u32 v11, v5, v12
	v_mul_lo_u32 v12, v5, v12
	v_add_co_u32_e32 v8, vcc, v8, v12
	v_mul_hi_u32 v10, v5, v13
	s_nop 0
	v_addc_co_u32_e32 v8, vcc, v9, v11, vcc
	v_mov_b32_e32 v9, v4
	s_nop 0
	v_addc_co_u32_e32 v11, vcc, 0, v10, vcc
	v_mul_lo_u32 v10, v5, v13
	v_lshl_add_u64 v[8:9], v[8:9], 0, v[10:11]
	v_add_co_u32_e32 v1, vcc, v1, v8
	v_mul_lo_u32 v10, s2, v1
	s_nop 0
	v_addc_co_u32_e32 v5, vcc, v5, v9, vcc
	v_mul_lo_u32 v8, s2, v5
	v_mul_hi_u32 v9, s2, v1
	v_add_u32_e32 v8, v9, v8
	v_mul_lo_u32 v9, s3, v1
	v_add_u32_e32 v12, v8, v9
	v_mul_hi_u32 v14, v5, v10
	v_mul_lo_u32 v15, v5, v10
	v_mul_hi_u32 v9, v1, v12
	v_mul_lo_u32 v8, v1, v12
	v_mul_hi_u32 v10, v1, v10
	v_mov_b32_e32 v11, v4
	v_lshl_add_u64 v[8:9], v[10:11], 0, v[8:9]
	v_add_co_u32_e32 v8, vcc, v8, v15
	v_mul_hi_u32 v13, v5, v12
	s_nop 0
	v_addc_co_u32_e32 v8, vcc, v9, v14, vcc
	v_mul_lo_u32 v10, v5, v12
	s_nop 0
	v_addc_co_u32_e32 v11, vcc, 0, v13, vcc
	v_mov_b32_e32 v9, v4
	v_lshl_add_u64 v[8:9], v[8:9], 0, v[10:11]
	v_add_co_u32_e32 v1, vcc, v1, v8
	v_mul_hi_u32 v10, v6, v1
	s_nop 0
	v_addc_co_u32_e32 v5, vcc, v5, v9, vcc
	v_mad_u64_u32 v[8:9], s[2:3], v6, v5, 0
	v_mov_b32_e32 v11, v4
	v_lshl_add_u64 v[8:9], v[10:11], 0, v[8:9]
	v_mad_u64_u32 v[12:13], s[2:3], v7, v1, 0
	v_add_co_u32_e32 v1, vcc, v8, v12
	v_mad_u64_u32 v[10:11], s[2:3], v7, v5, 0
	s_nop 0
	v_addc_co_u32_e32 v8, vcc, v9, v13, vcc
	v_mov_b32_e32 v9, v4
	s_nop 0
	v_addc_co_u32_e32 v11, vcc, 0, v11, vcc
	v_lshl_add_u64 v[8:9], v[8:9], 0, v[10:11]
	v_mul_lo_u32 v1, s19, v8
	v_mul_lo_u32 v5, s18, v9
	v_mad_u64_u32 v[10:11], s[2:3], s18, v8, 0
	v_add3_u32 v1, v11, v5, v1
	v_sub_u32_e32 v5, v7, v1
	v_mov_b32_e32 v11, s19
	v_sub_co_u32_e32 v14, vcc, v6, v10
	v_lshl_add_u64 v[12:13], v[8:9], 0, 1
	s_nop 0
	v_subb_co_u32_e64 v5, s[2:3], v5, v11, vcc
	v_subrev_co_u32_e64 v10, s[2:3], s18, v14
	v_subb_co_u32_e32 v1, vcc, v7, v1, vcc
	s_nop 0
	v_subbrev_co_u32_e64 v5, s[2:3], 0, v5, s[2:3]
	v_cmp_le_u32_e64 s[2:3], s19, v5
	v_cmp_le_u32_e32 vcc, s19, v1
	s_nop 0
	v_cndmask_b32_e64 v11, 0, -1, s[2:3]
	v_cmp_le_u32_e64 s[2:3], s18, v10
	s_nop 1
	v_cndmask_b32_e64 v10, 0, -1, s[2:3]
	v_cmp_eq_u32_e64 s[2:3], s19, v5
	s_nop 1
	v_cndmask_b32_e64 v5, v11, v10, s[2:3]
	v_lshl_add_u64 v[10:11], v[8:9], 0, 2
	v_cmp_ne_u32_e64 s[2:3], 0, v5
	s_nop 1
	v_cndmask_b32_e64 v5, v13, v11, s[2:3]
	v_cndmask_b32_e64 v11, 0, -1, vcc
	v_cmp_le_u32_e32 vcc, s18, v14
	s_nop 1
	v_cndmask_b32_e64 v13, 0, -1, vcc
	v_cmp_eq_u32_e32 vcc, s19, v1
	s_nop 1
	v_cndmask_b32_e32 v1, v11, v13, vcc
	v_cmp_ne_u32_e32 vcc, 0, v1
	v_cndmask_b32_e64 v1, v12, v10, s[2:3]
	s_nop 0
	v_cndmask_b32_e32 v9, v9, v5, vcc
	v_cndmask_b32_e32 v8, v8, v1, vcc
.LBB0_4:                                ;   in Loop: Header=BB0_2 Depth=1
	s_andn2_saveexec_b64 s[2:3], s[20:21]
	s_cbranch_execz .LBB0_6
; %bb.5:                                ;   in Loop: Header=BB0_2 Depth=1
	v_cvt_f32_u32_e32 v1, s18
	s_sub_i32 s20, 0, s18
	v_rcp_iflag_f32_e32 v1, v1
	s_nop 0
	v_mul_f32_e32 v1, 0x4f7ffffe, v1
	v_cvt_u32_f32_e32 v1, v1
	v_mul_lo_u32 v5, s20, v1
	v_mul_hi_u32 v5, v1, v5
	v_add_u32_e32 v1, v1, v5
	v_mul_hi_u32 v1, v6, v1
	v_mul_lo_u32 v5, v1, s18
	v_sub_u32_e32 v5, v6, v5
	v_add_u32_e32 v8, 1, v1
	v_subrev_u32_e32 v9, s18, v5
	v_cmp_le_u32_e32 vcc, s18, v5
	s_nop 1
	v_cndmask_b32_e32 v5, v5, v9, vcc
	v_cndmask_b32_e32 v1, v1, v8, vcc
	v_add_u32_e32 v8, 1, v1
	v_cmp_le_u32_e32 vcc, s18, v5
	v_mov_b32_e32 v9, v4
	s_nop 0
	v_cndmask_b32_e32 v8, v1, v8, vcc
.LBB0_6:                                ;   in Loop: Header=BB0_2 Depth=1
	s_or_b64 exec, exec, s[2:3]
	v_mad_u64_u32 v[10:11], s[2:3], v8, s18, 0
	s_load_dwordx2 s[2:3], s[12:13], 0x0
	v_mul_lo_u32 v1, v9, s18
	v_mul_lo_u32 v5, v8, s19
	v_add3_u32 v1, v11, v5, v1
	v_sub_co_u32_e32 v5, vcc, v6, v10
	s_add_u32 s14, s14, 1
	s_nop 0
	v_subb_co_u32_e32 v1, vcc, v7, v1, vcc
	s_addc_u32 s15, s15, 0
	s_waitcnt lgkmcnt(0)
	v_mul_lo_u32 v1, s2, v1
	v_mul_lo_u32 v6, s3, v5
	v_mad_u64_u32 v[2:3], s[2:3], s2, v5, v[2:3]
	s_add_u32 s12, s12, 8
	v_add3_u32 v3, v6, v3, v1
	s_addc_u32 s13, s13, 0
	v_mov_b64_e32 v[6:7], s[6:7]
	s_add_u32 s16, s16, 8
	v_cmp_ge_u64_e32 vcc, s[14:15], v[6:7]
	s_addc_u32 s17, s17, 0
	s_cbranch_vccnz .LBB0_9
; %bb.7:                                ;   in Loop: Header=BB0_2 Depth=1
	v_mov_b64_e32 v[6:7], v[8:9]
	s_branch .LBB0_2
.LBB0_8:
	v_mov_b64_e32 v[8:9], v[6:7]
.LBB0_9:
	s_lshl_b64 s[2:3], s[6:7], 3
	s_add_u32 s2, s10, s2
	s_addc_u32 s3, s11, s3
	s_load_dwordx2 s[6:7], s[2:3], 0x0
	s_load_dwordx2 s[10:11], s[0:1], 0x20
	s_mov_b32 s2, 0x10db20b
	s_waitcnt lgkmcnt(0)
	v_mul_lo_u32 v1, s6, v9
	v_mul_lo_u32 v4, s7, v8
	v_mad_u64_u32 v[2:3], s[0:1], s6, v8, v[2:3]
	v_add3_u32 v3, v4, v3, v1
	v_mul_hi_u32 v1, v0, s2
	v_mul_u32_u24_e32 v1, 0xf3, v1
	v_cmp_gt_u64_e64 s[0:1], s[10:11], v[8:9]
	v_sub_u32_e32 v6, v0, v1
	v_lshl_add_u64 v[4:5], v[2:3], 4, s[8:9]
	s_and_saveexec_b64 s[2:3], s[0:1]
	s_cbranch_execz .LBB0_13
; %bb.10:
	v_mov_b32_e32 v7, 0
	v_lshl_add_u64 v[20:21], v[6:7], 4, v[4:5]
	v_add_co_u32_e32 v22, vcc, 0x1000, v20
	global_load_dwordx4 v[0:3], v[20:21], off
	global_load_dwordx4 v[8:11], v[20:21], off offset:3888
	v_addc_co_u32_e32 v23, vcc, 0, v21, vcc
	v_add_co_u32_e32 v24, vcc, 0x2000, v20
	s_movk_i32 s6, 0xf2
	s_nop 0
	v_addc_co_u32_e32 v25, vcc, 0, v21, vcc
	v_add_co_u32_e32 v28, vcc, 0x3000, v20
	global_load_dwordx4 v[12:15], v[22:23], off offset:3680
	global_load_dwordx4 v[16:19], v[24:25], off offset:3472
	v_addc_co_u32_e32 v29, vcc, 0, v21, vcc
	v_add_co_u32_e32 v30, vcc, 0x4000, v20
	s_nop 1
	v_addc_co_u32_e32 v31, vcc, 0, v21, vcc
	global_load_dwordx4 v[20:23], v[28:29], off offset:3264
	global_load_dwordx4 v[24:27], v[30:31], off offset:3056
	v_lshl_add_u32 v28, v6, 4, 0
	v_cmp_eq_u32_e32 vcc, s6, v6
	s_waitcnt vmcnt(5)
	ds_write_b128 v28, v[0:3]
	s_waitcnt vmcnt(4)
	ds_write_b128 v28, v[8:11] offset:3888
	s_waitcnt vmcnt(3)
	ds_write_b128 v28, v[12:15] offset:7776
	;; [unrolled: 2-line block ×5, first 2 shown]
	s_and_saveexec_b64 s[6:7], vcc
	s_cbranch_execz .LBB0_12
; %bb.11:
	v_add_co_u32_e32 v0, vcc, 0x5000, v4
	v_mov_b32_e32 v6, 0xf2
	s_nop 0
	v_addc_co_u32_e32 v1, vcc, 0, v5, vcc
	global_load_dwordx4 v[0:3], v[0:1], off offset:2848
	s_waitcnt vmcnt(0)
	ds_write_b128 v7, v[0:3] offset:23328
.LBB0_12:
	s_or_b64 exec, exec, s[6:7]
.LBB0_13:
	s_or_b64 exec, exec, s[2:3]
	v_lshlrev_b32_e32 v0, 4, v6
	v_add_u32_e32 v14, 0, v0
	s_waitcnt lgkmcnt(0)
	s_barrier
	v_sub_u32_e32 v15, 0, v0
	ds_read_b64 v[10:11], v14
	ds_read_b64 v[12:13], v15 offset:23328
	s_add_u32 s2, s4, 0x5ac0
	s_addc_u32 s3, s5, 0
	v_cmp_ne_u32_e32 vcc, 0, v6
                                        ; implicit-def: $vgpr8_vgpr9
	s_waitcnt lgkmcnt(0)
	v_add_f64 v[0:1], v[10:11], v[12:13]
	v_add_f64 v[2:3], v[10:11], -v[12:13]
	s_and_saveexec_b64 s[6:7], vcc
	s_xor_b64 s[6:7], exec, s[6:7]
	s_cbranch_execz .LBB0_15
; %bb.14:
	v_mov_b32_e32 v7, 0
	v_lshl_add_u64 v[0:1], v[6:7], 4, s[2:3]
	global_load_dwordx4 v[16:19], v[0:1], off
	ds_read_b64 v[0:1], v15 offset:23336
	ds_read_b64 v[2:3], v14 offset:8
	v_add_f64 v[8:9], v[10:11], v[12:13]
	v_add_f64 v[12:13], v[10:11], -v[12:13]
	s_waitcnt lgkmcnt(0)
	v_add_f64 v[20:21], v[0:1], v[2:3]
	v_add_f64 v[0:1], v[2:3], -v[0:1]
	s_waitcnt vmcnt(0)
	v_fma_f64 v[22:23], v[12:13], v[18:19], v[8:9]
	v_fma_f64 v[8:9], -v[12:13], v[18:19], v[8:9]
	v_fma_f64 v[10:11], v[20:21], v[18:19], -v[0:1]
	v_fma_f64 v[2:3], v[20:21], v[18:19], v[0:1]
	v_fmac_f64_e32 v[8:9], v[20:21], v[16:17]
	v_fmac_f64_e32 v[10:11], v[12:13], v[16:17]
	v_fma_f64 v[0:1], -v[20:21], v[16:17], v[22:23]
	v_fmac_f64_e32 v[2:3], v[12:13], v[16:17]
	ds_write_b128 v15, v[8:11] offset:23328
	v_mov_b64_e32 v[8:9], v[6:7]
.LBB0_15:
	s_andn2_saveexec_b64 s[6:7], s[6:7]
	s_cbranch_execz .LBB0_17
; %bb.16:
	v_mov_b32_e32 v7, 0
	ds_read_b128 v[8:11], v7 offset:11664
	s_waitcnt lgkmcnt(0)
	v_add_f64 v[8:9], v[8:9], v[8:9]
	v_mul_f64 v[10:11], v[10:11], -2.0
	ds_write_b128 v7, v[8:11] offset:11664
	v_mov_b64_e32 v[8:9], 0
.LBB0_17:
	s_or_b64 exec, exec, s[6:7]
	v_lshl_add_u64 v[12:13], v[8:9], 4, s[2:3]
	global_load_dwordx4 v[8:11], v[12:13], off offset:3888
	s_movk_i32 s8, 0x1000
	v_add_co_u32_e32 v12, vcc, s8, v12
	ds_write_b128 v14, v[0:3]
	s_nop 0
	v_addc_co_u32_e32 v13, vcc, 0, v13, vcc
	global_load_dwordx4 v[16:19], v[12:13], off offset:3680
	ds_read_b128 v[20:23], v14 offset:3888
	ds_read_b128 v[24:27], v15 offset:19440
	s_mov_b32 s2, 0xe8584caa
	s_mov_b32 s3, 0x3febb67a
	;; [unrolled: 1-line block ×4, first 2 shown]
	s_waitcnt lgkmcnt(0)
	v_add_f64 v[0:1], v[20:21], v[24:25]
	v_add_f64 v[28:29], v[26:27], v[22:23]
	v_add_f64 v[24:25], v[20:21], -v[24:25]
	v_add_f64 v[22:23], v[22:23], -v[26:27]
	s_movk_i32 s9, 0x50
	v_add_u32_e32 v2, 0xf3, v6
	s_mov_b64 s[10:11], 0x1e00
	s_waitcnt vmcnt(1)
	v_fma_f64 v[26:27], v[24:25], v[10:11], v[0:1]
	v_fma_f64 v[12:13], v[28:29], v[10:11], v[22:23]
	v_fma_f64 v[20:21], -v[24:25], v[10:11], v[0:1]
	v_fma_f64 v[22:23], v[28:29], v[10:11], -v[22:23]
	v_fma_f64 v[10:11], -v[28:29], v[8:9], v[26:27]
	v_fmac_f64_e32 v[12:13], v[24:25], v[8:9]
	v_fmac_f64_e32 v[20:21], v[28:29], v[8:9]
	;; [unrolled: 1-line block ×3, first 2 shown]
	ds_write_b128 v14, v[10:13] offset:3888
	ds_write_b128 v15, v[20:23] offset:19440
	ds_read_b128 v[8:11], v14 offset:7776
	ds_read_b128 v[20:23], v15 offset:15552
	s_waitcnt lgkmcnt(0)
	v_add_f64 v[0:1], v[8:9], v[20:21]
	v_add_f64 v[12:13], v[22:23], v[10:11]
	v_add_f64 v[24:25], v[8:9], -v[20:21]
	v_add_f64 v[8:9], v[10:11], -v[22:23]
	s_waitcnt vmcnt(0)
	v_fma_f64 v[26:27], v[24:25], v[18:19], v[0:1]
	v_fma_f64 v[10:11], v[12:13], v[18:19], v[8:9]
	v_fma_f64 v[20:21], -v[24:25], v[18:19], v[0:1]
	v_fma_f64 v[22:23], v[12:13], v[18:19], -v[8:9]
	v_fma_f64 v[8:9], -v[12:13], v[16:17], v[26:27]
	v_fmac_f64_e32 v[10:11], v[24:25], v[16:17]
	v_fmac_f64_e32 v[20:21], v[12:13], v[16:17]
	;; [unrolled: 1-line block ×3, first 2 shown]
	ds_write_b128 v14, v[8:11] offset:7776
	ds_write_b128 v15, v[20:23] offset:15552
	s_waitcnt lgkmcnt(0)
	s_barrier
	s_barrier
	ds_read_b128 v[8:11], v14 offset:7776
	ds_read_b128 v[16:19], v14
	ds_read_b128 v[20:23], v14 offset:15552
	ds_read_b128 v[24:27], v14 offset:3888
	;; [unrolled: 1-line block ×4, first 2 shown]
	s_waitcnt lgkmcnt(4)
	v_add_f64 v[0:1], v[16:17], v[8:9]
	s_waitcnt lgkmcnt(3)
	v_add_f64 v[12:13], v[8:9], v[20:21]
	v_add_f64 v[36:37], v[10:11], -v[22:23]
	s_waitcnt lgkmcnt(1)
	v_add_f64 v[46:47], v[26:27], v[30:31]
	s_waitcnt lgkmcnt(0)
	v_add_f64 v[44:45], v[30:31], -v[34:35]
	v_add_f64 v[30:31], v[30:31], v[34:35]
	v_add_f64 v[38:39], v[18:19], v[10:11]
	;; [unrolled: 1-line block ×5, first 2 shown]
	v_add_f64 v[28:29], v[28:29], -v[32:33]
	v_fmac_f64_e32 v[16:17], -0.5, v[12:13]
	v_fmac_f64_e32 v[26:27], -0.5, v[30:31]
	v_add_f64 v[8:9], v[8:9], -v[20:21]
	v_add_f64 v[0:1], v[0:1], v[20:21]
	v_fmac_f64_e32 v[18:19], -0.5, v[10:11]
	v_add_f64 v[20:21], v[40:41], v[32:33]
	v_fmac_f64_e32 v[24:25], -0.5, v[42:43]
	v_fma_f64 v[32:33], s[2:3], v[36:37], v[16:17]
	v_fmac_f64_e32 v[16:17], s[6:7], v[36:37]
	v_fma_f64 v[36:37], s[6:7], v[28:29], v[26:27]
	v_add_f64 v[12:13], v[38:39], v[22:23]
	v_add_f64 v[22:23], v[46:47], v[34:35]
	v_fma_f64 v[34:35], s[6:7], v[8:9], v[18:19]
	v_fmac_f64_e32 v[18:19], s[2:3], v[8:9]
	v_fma_f64 v[30:31], s[2:3], v[44:45], v[24:25]
	v_fmac_f64_e32 v[24:25], s[6:7], v[44:45]
	v_fmac_f64_e32 v[26:27], s[2:3], v[28:29]
	v_add_f64 v[8:9], v[0:1], v[20:21]
	v_add_f64 v[20:21], v[0:1], -v[20:21]
	v_mul_f64 v[0:1], v[36:37], s[2:3]
	v_mul_f64 v[38:39], v[24:25], -0.5
	v_mul_f64 v[40:41], v[30:31], s[6:7]
	v_mul_f64 v[42:43], v[26:27], -0.5
	v_fmac_f64_e32 v[0:1], 0.5, v[30:31]
	v_add_f64 v[10:11], v[12:13], v[22:23]
	v_fmac_f64_e32 v[38:39], s[2:3], v[26:27]
	v_fmac_f64_e32 v[40:41], 0.5, v[36:37]
	v_fmac_f64_e32 v[42:43], s[6:7], v[24:25]
	v_add_f64 v[24:25], v[32:33], v[0:1]
	v_add_f64 v[32:33], v[32:33], -v[0:1]
	v_mad_u32_u24 v0, v6, s9, v14
	s_movk_i32 s9, 0xab
	v_add_f64 v[28:29], v[16:17], v[38:39]
	v_add_f64 v[26:27], v[34:35], v[40:41]
	;; [unrolled: 1-line block ×3, first 2 shown]
	v_add_f64 v[16:17], v[16:17], -v[38:39]
	v_add_f64 v[22:23], v[12:13], -v[22:23]
	;; [unrolled: 1-line block ×4, first 2 shown]
	s_barrier
	ds_write_b128 v0, v[8:11]
	ds_write_b128 v0, v[24:27] offset:16
	ds_write_b128 v0, v[28:31] offset:32
	;; [unrolled: 1-line block ×5, first 2 shown]
	v_mul_lo_u16_sdwa v0, v6, s9 dst_sel:DWORD dst_unused:UNUSED_PAD src0_sel:BYTE_0 src1_sel:DWORD
	v_lshrrev_b16_e32 v1, 10, v0
	v_mul_lo_u16_e32 v0, 6, v1
	v_sub_u16_e32 v3, v6, v0
	v_mov_b32_e32 v0, 5
	v_lshlrev_b32_sdwa v7, v0, v3 dst_sel:DWORD dst_unused:UNUSED_PAD src0_sel:DWORD src1_sel:BYTE_0
	s_mov_b32 s9, 0xaaab
	s_waitcnt lgkmcnt(0)
	s_barrier
	global_load_dwordx4 v[8:11], v7, s[4:5] offset:16
	global_load_dwordx4 v[16:19], v7, s[4:5]
	v_mul_u32_u24_sdwa v7, v2, s9 dst_sel:DWORD dst_unused:UNUSED_PAD src0_sel:WORD_0 src1_sel:DWORD
	v_lshrrev_b32_e32 v7, 18, v7
	v_mul_lo_u16_e32 v12, 6, v7
	v_sub_u16_e32 v15, v2, v12
	v_lshlrev_b32_e32 v12, 5, v15
	global_load_dwordx4 v[20:23], v12, s[4:5]
	global_load_dwordx4 v[24:27], v12, s[4:5] offset:16
	ds_read_b128 v[28:31], v14
	ds_read_b128 v[32:35], v14 offset:3888
	ds_read_b128 v[36:39], v14 offset:7776
	;; [unrolled: 1-line block ×5, first 2 shown]
	s_waitcnt lgkmcnt(0)
	s_barrier
	s_mov_b32 s9, 0xe38f
	s_waitcnt vmcnt(3)
	v_mul_f64 v[52:53], v[46:47], v[10:11]
	s_waitcnt vmcnt(2)
	v_mul_f64 v[12:13], v[38:39], v[18:19]
	v_mul_f64 v[18:19], v[36:37], v[18:19]
	;; [unrolled: 1-line block ×3, first 2 shown]
	v_fmac_f64_e32 v[18:19], v[38:39], v[16:17]
	v_fmac_f64_e32 v[10:11], v[46:47], v[8:9]
	s_waitcnt vmcnt(1)
	v_mul_f64 v[54:55], v[42:43], v[22:23]
	v_fma_f64 v[12:13], v[36:37], v[16:17], -v[12:13]
	v_mul_f64 v[16:17], v[40:41], v[22:23]
	s_waitcnt vmcnt(0)
	v_mul_f64 v[22:23], v[50:51], v[26:27]
	v_mul_f64 v[26:27], v[48:49], v[26:27]
	v_fma_f64 v[36:37], v[44:45], v[8:9], -v[52:53]
	v_fma_f64 v[8:9], v[40:41], v[20:21], -v[54:55]
	v_add_f64 v[38:39], v[18:19], -v[10:11]
	v_add_f64 v[40:41], v[30:31], v[18:19]
	v_add_f64 v[18:19], v[18:19], v[10:11]
	v_fmac_f64_e32 v[16:17], v[42:43], v[20:21]
	v_fma_f64 v[20:21], v[48:49], v[24:25], -v[22:23]
	v_fmac_f64_e32 v[26:27], v[50:51], v[24:25]
	v_add_f64 v[22:23], v[28:29], v[12:13]
	v_add_f64 v[24:25], v[12:13], v[36:37]
	v_add_f64 v[12:13], v[12:13], -v[36:37]
	v_fmac_f64_e32 v[30:31], -0.5, v[18:19]
	v_add_f64 v[42:43], v[32:33], v[8:9]
	v_add_f64 v[44:45], v[8:9], v[20:21]
	v_add_f64 v[52:53], v[8:9], -v[20:21]
	v_add_f64 v[8:9], v[22:23], v[36:37]
	v_fma_f64 v[22:23], s[6:7], v[12:13], v[30:31]
	v_fmac_f64_e32 v[30:31], s[2:3], v[12:13]
	v_mul_u32_u24_e32 v12, 0x120, v1
	v_mov_b32_e32 v1, 4
	v_lshlrev_b32_sdwa v3, v1, v3 dst_sel:DWORD dst_unused:UNUSED_PAD src0_sel:DWORD src1_sel:BYTE_0
	v_fmac_f64_e32 v[28:29], -0.5, v[24:25]
	v_add_f64 v[10:11], v[40:41], v[10:11]
	v_add3_u32 v3, 0, v12, v3
	v_add_f64 v[46:47], v[16:17], -v[26:27]
	v_add_f64 v[48:49], v[34:35], v[16:17]
	v_add_f64 v[50:51], v[16:17], v[26:27]
	;; [unrolled: 1-line block ×3, first 2 shown]
	v_fma_f64 v[20:21], s[2:3], v[38:39], v[28:29]
	v_fmac_f64_e32 v[28:29], s[6:7], v[38:39]
	ds_write_b128 v3, v[8:11]
	ds_write_b128 v3, v[20:23] offset:96
	ds_write_b128 v3, v[28:31] offset:192
	v_mul_u32_u24_e32 v3, 0x120, v7
	v_lshlrev_b32_e32 v7, 4, v15
	v_fmac_f64_e32 v[32:33], -0.5, v[44:45]
	v_add_f64 v[18:19], v[48:49], v[26:27]
	v_fmac_f64_e32 v[34:35], -0.5, v[50:51]
	v_add3_u32 v3, 0, v3, v7
	v_fma_f64 v[24:25], s[2:3], v[46:47], v[32:33]
	v_fmac_f64_e32 v[32:33], s[6:7], v[46:47]
	v_fma_f64 v[26:27], s[6:7], v[52:53], v[34:35]
	v_fmac_f64_e32 v[34:35], s[2:3], v[52:53]
	ds_write_b128 v3, v[16:19]
	ds_write_b128 v3, v[24:27] offset:96
	ds_write_b128 v3, v[32:35] offset:192
	v_mov_b32_e32 v3, 57
	v_mul_lo_u16_sdwa v3, v6, v3 dst_sel:DWORD dst_unused:UNUSED_PAD src0_sel:BYTE_0 src1_sel:DWORD
	v_lshrrev_b16_e32 v3, 10, v3
	v_mul_lo_u16_e32 v7, 18, v3
	v_sub_u16_e32 v7, v6, v7
	v_lshlrev_b32_sdwa v12, v0, v7 dst_sel:DWORD dst_unused:UNUSED_PAD src0_sel:DWORD src1_sel:BYTE_0
	s_waitcnt lgkmcnt(0)
	s_barrier
	global_load_dwordx4 v[8:11], v12, s[4:5] offset:208
	global_load_dwordx4 v[16:19], v12, s[4:5] offset:192
	v_mul_u32_u24_sdwa v12, v2, s9 dst_sel:DWORD dst_unused:UNUSED_PAD src0_sel:WORD_0 src1_sel:DWORD
	v_lshrrev_b32_e32 v15, 20, v12
	v_mul_lo_u16_e32 v12, 18, v15
	v_sub_u16_e32 v56, v2, v12
	v_lshlrev_b32_e32 v12, 5, v56
	global_load_dwordx4 v[20:23], v12, s[4:5] offset:192
	global_load_dwordx4 v[24:27], v12, s[4:5] offset:208
	ds_read_b128 v[28:31], v14
	ds_read_b128 v[32:35], v14 offset:3888
	ds_read_b128 v[36:39], v14 offset:7776
	;; [unrolled: 1-line block ×5, first 2 shown]
	v_mul_u32_u24_e32 v3, 0x360, v3
	v_lshlrev_b32_sdwa v7, v1, v7 dst_sel:DWORD dst_unused:UNUSED_PAD src0_sel:DWORD src1_sel:BYTE_0
	v_add3_u32 v3, 0, v3, v7
	s_waitcnt lgkmcnt(0)
	s_barrier
	v_lshlrev_b32_e32 v7, 4, v56
	s_movk_i32 s9, 0xa2
	v_cmp_gt_u32_e32 vcc, s9, v6
	s_movk_i32 s9, 0x6523
	s_waitcnt vmcnt(3)
	v_mul_f64 v[52:53], v[46:47], v[10:11]
	s_waitcnt vmcnt(2)
	v_mul_f64 v[12:13], v[38:39], v[18:19]
	v_mul_f64 v[18:19], v[36:37], v[18:19]
	v_mul_f64 v[10:11], v[44:45], v[10:11]
	v_fma_f64 v[12:13], v[36:37], v[16:17], -v[12:13]
	v_fmac_f64_e32 v[18:19], v[38:39], v[16:17]
	s_waitcnt vmcnt(1)
	v_mul_f64 v[54:55], v[42:43], v[22:23]
	v_mul_f64 v[16:17], v[40:41], v[22:23]
	s_waitcnt vmcnt(0)
	v_mul_f64 v[22:23], v[50:51], v[26:27]
	v_mul_f64 v[26:27], v[48:49], v[26:27]
	v_fma_f64 v[36:37], v[44:45], v[8:9], -v[52:53]
	v_fmac_f64_e32 v[10:11], v[46:47], v[8:9]
	v_fma_f64 v[8:9], v[40:41], v[20:21], -v[54:55]
	v_fmac_f64_e32 v[16:17], v[42:43], v[20:21]
	v_fma_f64 v[20:21], v[48:49], v[24:25], -v[22:23]
	v_fmac_f64_e32 v[26:27], v[50:51], v[24:25]
	v_add_f64 v[22:23], v[28:29], v[12:13]
	v_add_f64 v[24:25], v[12:13], v[36:37]
	v_add_f64 v[38:39], v[18:19], -v[10:11]
	v_add_f64 v[40:41], v[30:31], v[18:19]
	v_add_f64 v[18:19], v[18:19], v[10:11]
	v_add_f64 v[12:13], v[12:13], -v[36:37]
	;; [unrolled: 3-line block ×3, first 2 shown]
	v_add_f64 v[8:9], v[22:23], v[36:37]
	v_fmac_f64_e32 v[28:29], -0.5, v[24:25]
	v_add_f64 v[10:11], v[40:41], v[10:11]
	v_fmac_f64_e32 v[30:31], -0.5, v[18:19]
	v_add_f64 v[46:47], v[16:17], -v[26:27]
	v_add_f64 v[48:49], v[34:35], v[16:17]
	v_add_f64 v[50:51], v[16:17], v[26:27]
	;; [unrolled: 1-line block ×3, first 2 shown]
	v_fma_f64 v[20:21], s[2:3], v[38:39], v[28:29]
	v_fmac_f64_e32 v[28:29], s[6:7], v[38:39]
	v_fma_f64 v[22:23], s[6:7], v[12:13], v[30:31]
	v_fmac_f64_e32 v[30:31], s[2:3], v[12:13]
	ds_write_b128 v3, v[8:11]
	ds_write_b128 v3, v[20:23] offset:288
	ds_write_b128 v3, v[28:31] offset:576
	v_mul_u32_u24_e32 v3, 0x360, v15
	v_fmac_f64_e32 v[32:33], -0.5, v[44:45]
	v_add_f64 v[18:19], v[48:49], v[26:27]
	v_fmac_f64_e32 v[34:35], -0.5, v[50:51]
	v_add3_u32 v3, 0, v3, v7
	v_fma_f64 v[24:25], s[2:3], v[46:47], v[32:33]
	v_fmac_f64_e32 v[32:33], s[6:7], v[46:47]
	v_fma_f64 v[26:27], s[6:7], v[52:53], v[34:35]
	v_fmac_f64_e32 v[34:35], s[2:3], v[52:53]
	ds_write_b128 v3, v[16:19]
	ds_write_b128 v3, v[24:27] offset:288
	ds_write_b128 v3, v[32:35] offset:576
	v_mov_b32_e32 v3, 19
	v_mul_lo_u16_sdwa v3, v6, v3 dst_sel:DWORD dst_unused:UNUSED_PAD src0_sel:BYTE_0 src1_sel:DWORD
	v_lshrrev_b16_e32 v3, 10, v3
	v_mul_lo_u16_e32 v7, 54, v3
	v_sub_u16_e32 v7, v6, v7
	v_lshlrev_b32_sdwa v0, v0, v7 dst_sel:DWORD dst_unused:UNUSED_PAD src0_sel:DWORD src1_sel:BYTE_0
	s_waitcnt lgkmcnt(0)
	s_barrier
	global_load_dwordx4 v[8:11], v0, s[4:5] offset:784
	global_load_dwordx4 v[16:19], v0, s[4:5] offset:768
	v_lshrrev_b16_e32 v0, 1, v2
	v_mul_u32_u24_e32 v0, 0x97b5, v0
	v_lshrrev_b32_e32 v0, 20, v0
	v_mul_lo_u16_e32 v12, 54, v0
	v_sub_u16_e32 v15, v2, v12
	v_lshlrev_b32_e32 v12, 5, v15
	global_load_dwordx4 v[20:23], v12, s[4:5] offset:768
	global_load_dwordx4 v[24:27], v12, s[4:5] offset:784
	ds_read_b128 v[28:31], v14
	ds_read_b128 v[32:35], v14 offset:3888
	ds_read_b128 v[36:39], v14 offset:7776
	;; [unrolled: 1-line block ×5, first 2 shown]
	v_mul_u32_u24_e32 v3, 0xa20, v3
	v_lshlrev_b32_sdwa v1, v1, v7 dst_sel:DWORD dst_unused:UNUSED_PAD src0_sel:DWORD src1_sel:BYTE_0
	v_add3_u32 v1, 0, v3, v1
	s_waitcnt lgkmcnt(0)
	s_barrier
	v_mul_u32_u24_e32 v0, 0xa20, v0
	s_waitcnt vmcnt(3)
	v_mul_f64 v[52:53], v[46:47], v[10:11]
	s_waitcnt vmcnt(2)
	v_mul_f64 v[12:13], v[38:39], v[18:19]
	v_mul_f64 v[18:19], v[36:37], v[18:19]
	;; [unrolled: 1-line block ×3, first 2 shown]
	v_fma_f64 v[12:13], v[36:37], v[16:17], -v[12:13]
	v_fmac_f64_e32 v[18:19], v[38:39], v[16:17]
	v_fma_f64 v[36:37], v[44:45], v[8:9], -v[52:53]
	s_waitcnt vmcnt(1)
	v_mul_f64 v[54:55], v[42:43], v[22:23]
	v_mul_f64 v[16:17], v[40:41], v[22:23]
	s_waitcnt vmcnt(0)
	v_mul_f64 v[22:23], v[50:51], v[26:27]
	v_mul_f64 v[26:27], v[48:49], v[26:27]
	v_fmac_f64_e32 v[10:11], v[46:47], v[8:9]
	v_fma_f64 v[8:9], v[40:41], v[20:21], -v[54:55]
	v_fmac_f64_e32 v[16:17], v[42:43], v[20:21]
	v_fma_f64 v[20:21], v[48:49], v[24:25], -v[22:23]
	v_fmac_f64_e32 v[26:27], v[50:51], v[24:25]
	v_add_f64 v[22:23], v[28:29], v[12:13]
	v_add_f64 v[24:25], v[12:13], v[36:37]
	v_add_f64 v[38:39], v[18:19], -v[10:11]
	v_add_f64 v[40:41], v[30:31], v[18:19]
	v_add_f64 v[18:19], v[18:19], v[10:11]
	v_add_f64 v[12:13], v[12:13], -v[36:37]
	;; [unrolled: 3-line block ×3, first 2 shown]
	v_add_f64 v[8:9], v[22:23], v[36:37]
	v_fmac_f64_e32 v[28:29], -0.5, v[24:25]
	v_add_f64 v[10:11], v[40:41], v[10:11]
	v_fmac_f64_e32 v[30:31], -0.5, v[18:19]
	v_add_f64 v[46:47], v[16:17], -v[26:27]
	v_add_f64 v[48:49], v[34:35], v[16:17]
	v_add_f64 v[50:51], v[16:17], v[26:27]
	;; [unrolled: 1-line block ×3, first 2 shown]
	v_fma_f64 v[20:21], s[2:3], v[38:39], v[28:29]
	v_fmac_f64_e32 v[28:29], s[6:7], v[38:39]
	v_fma_f64 v[22:23], s[6:7], v[12:13], v[30:31]
	v_fmac_f64_e32 v[30:31], s[2:3], v[12:13]
	ds_write_b128 v1, v[8:11]
	ds_write_b128 v1, v[20:23] offset:864
	ds_write_b128 v1, v[28:31] offset:1728
	v_lshlrev_b32_e32 v1, 4, v15
	v_fmac_f64_e32 v[32:33], -0.5, v[44:45]
	v_add_f64 v[18:19], v[48:49], v[26:27]
	v_fmac_f64_e32 v[34:35], -0.5, v[50:51]
	v_add3_u32 v0, 0, v0, v1
	v_fma_f64 v[24:25], s[2:3], v[46:47], v[32:33]
	v_fmac_f64_e32 v[32:33], s[6:7], v[46:47]
	v_fma_f64 v[26:27], s[6:7], v[52:53], v[34:35]
	v_fmac_f64_e32 v[34:35], s[2:3], v[52:53]
	ds_write_b128 v0, v[16:19]
	ds_write_b128 v0, v[24:27] offset:864
	ds_write_b128 v0, v[32:35] offset:1728
	v_add_u32_e32 v0, 0xffffff5e, v6
	v_cndmask_b32_e32 v3, v0, v6, vcc
	v_lshlrev_b32_e32 v0, 1, v3
	v_mov_b32_e32 v1, 0
	v_lshl_add_u64 v[12:13], v[0:1], 4, s[4:5]
	v_mul_u32_u24_sdwa v0, v2, s9 dst_sel:DWORD dst_unused:UNUSED_PAD src0_sel:WORD_0 src1_sel:DWORD
	v_lshrrev_b32_e32 v0, 22, v0
	v_mul_lo_u16_e32 v7, 0xa2, v0
	s_waitcnt lgkmcnt(0)
	s_barrier
	global_load_dwordx4 v[8:11], v[12:13], off offset:2512
	global_load_dwordx4 v[16:19], v[12:13], off offset:2496
	v_sub_u16_e32 v7, v2, v7
	v_lshlrev_b32_e32 v12, 5, v7
	global_load_dwordx4 v[20:23], v12, s[4:5] offset:2496
	global_load_dwordx4 v[24:27], v12, s[4:5] offset:2512
	ds_read_b128 v[28:31], v14
	ds_read_b128 v[32:35], v14 offset:3888
	ds_read_b128 v[36:39], v14 offset:7776
	;; [unrolled: 1-line block ×5, first 2 shown]
	s_movk_i32 s9, 0xa1
	v_cmp_lt_u32_e32 vcc, s9, v6
	v_lshlrev_b32_e32 v3, 4, v3
	s_waitcnt lgkmcnt(0)
	s_barrier
	v_mul_u32_u24_e32 v0, 0x1e60, v0
	s_waitcnt vmcnt(3)
	v_mul_f64 v[52:53], v[46:47], v[10:11]
	s_waitcnt vmcnt(2)
	v_mul_f64 v[12:13], v[38:39], v[18:19]
	v_mul_f64 v[18:19], v[36:37], v[18:19]
	;; [unrolled: 1-line block ×3, first 2 shown]
	s_waitcnt vmcnt(1)
	v_mul_f64 v[54:55], v[42:43], v[22:23]
	v_fmac_f64_e32 v[18:19], v[38:39], v[16:17]
	v_fmac_f64_e32 v[10:11], v[46:47], v[8:9]
	v_fma_f64 v[12:13], v[36:37], v[16:17], -v[12:13]
	v_mul_f64 v[16:17], v[40:41], v[22:23]
	s_waitcnt vmcnt(0)
	v_mul_f64 v[22:23], v[50:51], v[26:27]
	v_mul_f64 v[26:27], v[48:49], v[26:27]
	v_fma_f64 v[36:37], v[44:45], v[8:9], -v[52:53]
	v_fma_f64 v[8:9], v[40:41], v[20:21], -v[54:55]
	v_add_f64 v[38:39], v[18:19], -v[10:11]
	v_add_f64 v[40:41], v[30:31], v[18:19]
	v_add_f64 v[18:19], v[18:19], v[10:11]
	v_fmac_f64_e32 v[16:17], v[42:43], v[20:21]
	v_fma_f64 v[20:21], v[48:49], v[24:25], -v[22:23]
	v_fmac_f64_e32 v[26:27], v[50:51], v[24:25]
	v_add_f64 v[22:23], v[28:29], v[12:13]
	v_add_f64 v[24:25], v[12:13], v[36:37]
	v_add_f64 v[12:13], v[12:13], -v[36:37]
	v_fmac_f64_e32 v[30:31], -0.5, v[18:19]
	v_add_f64 v[42:43], v[32:33], v[8:9]
	v_add_f64 v[44:45], v[8:9], v[20:21]
	v_add_f64 v[52:53], v[8:9], -v[20:21]
	v_add_f64 v[8:9], v[22:23], v[36:37]
	v_fma_f64 v[22:23], s[6:7], v[12:13], v[30:31]
	v_fmac_f64_e32 v[30:31], s[2:3], v[12:13]
	v_mov_b32_e32 v12, 0x1e60
	v_cndmask_b32_e32 v12, 0, v12, vcc
	v_fmac_f64_e32 v[28:29], -0.5, v[24:25]
	v_add_f64 v[10:11], v[40:41], v[10:11]
	v_add3_u32 v3, 0, v12, v3
	v_add_f64 v[46:47], v[16:17], -v[26:27]
	v_add_f64 v[48:49], v[34:35], v[16:17]
	v_add_f64 v[50:51], v[16:17], v[26:27]
	;; [unrolled: 1-line block ×3, first 2 shown]
	v_fma_f64 v[20:21], s[2:3], v[38:39], v[28:29]
	v_fmac_f64_e32 v[28:29], s[6:7], v[38:39]
	ds_write_b128 v3, v[8:11]
	ds_write_b128 v3, v[20:23] offset:2592
	ds_write_b128 v3, v[28:31] offset:5184
	v_lshlrev_b32_e32 v3, 4, v7
	v_fmac_f64_e32 v[32:33], -0.5, v[44:45]
	v_add_f64 v[18:19], v[48:49], v[26:27]
	v_fmac_f64_e32 v[34:35], -0.5, v[50:51]
	v_add3_u32 v0, 0, v0, v3
	v_fma_f64 v[24:25], s[2:3], v[46:47], v[32:33]
	v_fmac_f64_e32 v[32:33], s[6:7], v[46:47]
	v_fma_f64 v[26:27], s[6:7], v[52:53], v[34:35]
	v_fmac_f64_e32 v[34:35], s[2:3], v[52:53]
	ds_write_b128 v0, v[16:19]
	ds_write_b128 v0, v[24:27] offset:2592
	ds_write_b128 v0, v[32:35] offset:5184
	v_lshlrev_b32_e32 v0, 1, v6
	v_lshl_add_u64 v[8:9], v[0:1], 4, s[4:5]
	v_add_co_u32_e32 v20, vcc, s8, v8
	v_lshlrev_b32_e32 v0, 1, v2
	v_lshl_add_u64 v[12:13], v[8:9], 0, s[10:11]
	v_addc_co_u32_e32 v21, vcc, 0, v9, vcc
	v_lshl_add_u64 v[2:3], v[0:1], 4, s[4:5]
	s_waitcnt lgkmcnt(0)
	s_barrier
	global_load_dwordx4 v[8:11], v[20:21], off offset:3584
	global_load_dwordx4 v[16:19], v[12:13], off offset:16
	v_add_co_u32_e32 v12, vcc, s8, v2
	s_nop 1
	v_addc_co_u32_e32 v13, vcc, 0, v3, vcc
	v_lshl_add_u64 v[2:3], v[2:3], 0, s[10:11]
	global_load_dwordx4 v[20:23], v[12:13], off offset:3584
	global_load_dwordx4 v[24:27], v[2:3], off offset:16
	ds_read_b128 v[28:31], v14 offset:7776
	ds_read_b128 v[32:35], v14 offset:15552
	ds_read_b128 v[36:39], v14
	ds_read_b128 v[40:43], v14 offset:3888
	ds_read_b128 v[44:47], v14 offset:11664
	ds_read_b128 v[48:51], v14 offset:19440
	s_waitcnt lgkmcnt(0)
	s_barrier
	s_waitcnt vmcnt(3)
	v_mul_f64 v[2:3], v[30:31], v[10:11]
	v_mul_f64 v[10:11], v[28:29], v[10:11]
	s_waitcnt vmcnt(2)
	v_mul_f64 v[12:13], v[34:35], v[18:19]
	v_mul_f64 v[18:19], v[32:33], v[18:19]
	v_fmac_f64_e32 v[10:11], v[30:31], v[8:9]
	v_fmac_f64_e32 v[18:19], v[34:35], v[16:17]
	v_fma_f64 v[2:3], v[28:29], v[8:9], -v[2:3]
	v_fma_f64 v[8:9], v[32:33], v[16:17], -v[12:13]
	s_waitcnt vmcnt(1)
	v_mul_f64 v[52:53], v[46:47], v[22:23]
	v_mul_f64 v[22:23], v[44:45], v[22:23]
	s_waitcnt vmcnt(0)
	v_mul_f64 v[54:55], v[50:51], v[26:27]
	v_mul_f64 v[26:27], v[48:49], v[26:27]
	v_fma_f64 v[12:13], v[44:45], v[20:21], -v[52:53]
	v_fmac_f64_e32 v[22:23], v[46:47], v[20:21]
	v_fma_f64 v[28:29], v[48:49], v[24:25], -v[54:55]
	v_fmac_f64_e32 v[26:27], v[50:51], v[24:25]
	v_add_f64 v[32:33], v[10:11], v[18:19]
	v_add_f64 v[16:17], v[36:37], v[2:3]
	;; [unrolled: 1-line block ×4, first 2 shown]
	v_add_f64 v[2:3], v[2:3], -v[8:9]
	v_add_f64 v[44:45], v[12:13], v[28:29]
	v_add_f64 v[50:51], v[22:23], v[26:27]
	v_fmac_f64_e32 v[38:39], -0.5, v[32:33]
	v_add_f64 v[24:25], v[10:11], -v[18:19]
	v_add_f64 v[34:35], v[40:41], v[12:13]
	v_add_f64 v[46:47], v[22:23], -v[26:27]
	v_add_f64 v[48:49], v[42:43], v[22:23]
	v_add_f64 v[8:9], v[16:17], v[8:9]
	v_fmac_f64_e32 v[36:37], -0.5, v[20:21]
	v_add_f64 v[10:11], v[30:31], v[18:19]
	v_fmac_f64_e32 v[40:41], -0.5, v[44:45]
	v_fma_f64 v[22:23], s[6:7], v[2:3], v[38:39]
	v_fmac_f64_e32 v[38:39], s[2:3], v[2:3]
	v_fmac_f64_e32 v[42:43], -0.5, v[50:51]
	v_add_f64 v[2:3], v[12:13], -v[28:29]
	v_add_f64 v[16:17], v[34:35], v[28:29]
	v_add_f64 v[18:19], v[48:49], v[26:27]
	v_fma_f64 v[20:21], s[2:3], v[24:25], v[36:37]
	v_fmac_f64_e32 v[36:37], s[6:7], v[24:25]
	v_fma_f64 v[24:25], s[2:3], v[46:47], v[40:41]
	v_fmac_f64_e32 v[40:41], s[6:7], v[46:47]
	;; [unrolled: 2-line block ×3, first 2 shown]
	ds_write_b128 v14, v[8:11]
	ds_write_b128 v14, v[20:23] offset:7776
	ds_write_b128 v14, v[36:39] offset:15552
	;; [unrolled: 1-line block ×5, first 2 shown]
	s_waitcnt lgkmcnt(0)
	s_barrier
	s_and_saveexec_b64 s[2:3], s[0:1]
	s_cbranch_execz .LBB0_19
; %bb.18:
	v_lshl_add_u32 v16, v6, 4, 0
	ds_read_b128 v[8:11], v16
	ds_read_b128 v[12:15], v16 offset:3888
	v_mov_b32_e32 v7, v1
	v_add_u32_e32 v0, 0xf3, v6
	v_lshl_add_u64 v[2:3], v[6:7], 4, v[4:5]
	s_waitcnt lgkmcnt(1)
	global_store_dwordx4 v[2:3], v[8:11], off
	v_lshl_add_u64 v[2:3], v[0:1], 4, v[4:5]
	ds_read_b128 v[8:11], v16 offset:7776
	s_waitcnt lgkmcnt(1)
	global_store_dwordx4 v[2:3], v[12:15], off
	ds_read_b128 v[12:15], v16 offset:11664
	v_add_u32_e32 v0, 0x1e6, v6
	v_lshl_add_u64 v[2:3], v[0:1], 4, v[4:5]
	v_add_u32_e32 v0, 0x2d9, v6
	s_waitcnt lgkmcnt(1)
	global_store_dwordx4 v[2:3], v[8:11], off
	v_lshl_add_u64 v[2:3], v[0:1], 4, v[4:5]
	ds_read_b128 v[8:11], v16 offset:15552
	s_waitcnt lgkmcnt(1)
	global_store_dwordx4 v[2:3], v[12:15], off
	ds_read_b128 v[12:15], v16 offset:19440
	v_add_u32_e32 v0, 0x3cc, v6
	v_lshl_add_u64 v[2:3], v[0:1], 4, v[4:5]
	v_add_u32_e32 v0, 0x4bf, v6
	v_lshl_add_u64 v[0:1], v[0:1], 4, v[4:5]
	s_waitcnt lgkmcnt(1)
	global_store_dwordx4 v[2:3], v[8:11], off
	s_waitcnt lgkmcnt(0)
	global_store_dwordx4 v[0:1], v[12:15], off
.LBB0_19:
	s_endpgm
	.section	.rodata,"a",@progbits
	.p2align	6, 0x0
	.amdhsa_kernel fft_rtc_fwd_len1458_factors_6_3_3_3_3_3_wgs_243_tpt_243_halfLds_dp_ip_CI_unitstride_sbrr_C2R_dirReg
		.amdhsa_group_segment_fixed_size 0
		.amdhsa_private_segment_fixed_size 0
		.amdhsa_kernarg_size 88
		.amdhsa_user_sgpr_count 2
		.amdhsa_user_sgpr_dispatch_ptr 0
		.amdhsa_user_sgpr_queue_ptr 0
		.amdhsa_user_sgpr_kernarg_segment_ptr 1
		.amdhsa_user_sgpr_dispatch_id 0
		.amdhsa_user_sgpr_kernarg_preload_length 0
		.amdhsa_user_sgpr_kernarg_preload_offset 0
		.amdhsa_user_sgpr_private_segment_size 0
		.amdhsa_uses_dynamic_stack 0
		.amdhsa_enable_private_segment 0
		.amdhsa_system_sgpr_workgroup_id_x 1
		.amdhsa_system_sgpr_workgroup_id_y 0
		.amdhsa_system_sgpr_workgroup_id_z 0
		.amdhsa_system_sgpr_workgroup_info 0
		.amdhsa_system_vgpr_workitem_id 0
		.amdhsa_next_free_vgpr 57
		.amdhsa_next_free_sgpr 22
		.amdhsa_accum_offset 60
		.amdhsa_reserve_vcc 1
		.amdhsa_float_round_mode_32 0
		.amdhsa_float_round_mode_16_64 0
		.amdhsa_float_denorm_mode_32 3
		.amdhsa_float_denorm_mode_16_64 3
		.amdhsa_dx10_clamp 1
		.amdhsa_ieee_mode 1
		.amdhsa_fp16_overflow 0
		.amdhsa_tg_split 0
		.amdhsa_exception_fp_ieee_invalid_op 0
		.amdhsa_exception_fp_denorm_src 0
		.amdhsa_exception_fp_ieee_div_zero 0
		.amdhsa_exception_fp_ieee_overflow 0
		.amdhsa_exception_fp_ieee_underflow 0
		.amdhsa_exception_fp_ieee_inexact 0
		.amdhsa_exception_int_div_zero 0
	.end_amdhsa_kernel
	.text
.Lfunc_end0:
	.size	fft_rtc_fwd_len1458_factors_6_3_3_3_3_3_wgs_243_tpt_243_halfLds_dp_ip_CI_unitstride_sbrr_C2R_dirReg, .Lfunc_end0-fft_rtc_fwd_len1458_factors_6_3_3_3_3_3_wgs_243_tpt_243_halfLds_dp_ip_CI_unitstride_sbrr_C2R_dirReg
                                        ; -- End function
	.section	.AMDGPU.csdata,"",@progbits
; Kernel info:
; codeLenInByte = 5632
; NumSgprs: 28
; NumVgprs: 57
; NumAgprs: 0
; TotalNumVgprs: 57
; ScratchSize: 0
; MemoryBound: 0
; FloatMode: 240
; IeeeMode: 1
; LDSByteSize: 0 bytes/workgroup (compile time only)
; SGPRBlocks: 3
; VGPRBlocks: 7
; NumSGPRsForWavesPerEU: 28
; NumVGPRsForWavesPerEU: 57
; AccumOffset: 60
; Occupancy: 8
; WaveLimiterHint : 1
; COMPUTE_PGM_RSRC2:SCRATCH_EN: 0
; COMPUTE_PGM_RSRC2:USER_SGPR: 2
; COMPUTE_PGM_RSRC2:TRAP_HANDLER: 0
; COMPUTE_PGM_RSRC2:TGID_X_EN: 1
; COMPUTE_PGM_RSRC2:TGID_Y_EN: 0
; COMPUTE_PGM_RSRC2:TGID_Z_EN: 0
; COMPUTE_PGM_RSRC2:TIDIG_COMP_CNT: 0
; COMPUTE_PGM_RSRC3_GFX90A:ACCUM_OFFSET: 14
; COMPUTE_PGM_RSRC3_GFX90A:TG_SPLIT: 0
	.text
	.p2alignl 6, 3212836864
	.fill 256, 4, 3212836864
	.type	__hip_cuid_74336f703b0b9137,@object ; @__hip_cuid_74336f703b0b9137
	.section	.bss,"aw",@nobits
	.globl	__hip_cuid_74336f703b0b9137
__hip_cuid_74336f703b0b9137:
	.byte	0                               ; 0x0
	.size	__hip_cuid_74336f703b0b9137, 1

	.ident	"AMD clang version 19.0.0git (https://github.com/RadeonOpenCompute/llvm-project roc-6.4.0 25133 c7fe45cf4b819c5991fe208aaa96edf142730f1d)"
	.section	".note.GNU-stack","",@progbits
	.addrsig
	.addrsig_sym __hip_cuid_74336f703b0b9137
	.amdgpu_metadata
---
amdhsa.kernels:
  - .agpr_count:     0
    .args:
      - .actual_access:  read_only
        .address_space:  global
        .offset:         0
        .size:           8
        .value_kind:     global_buffer
      - .offset:         8
        .size:           8
        .value_kind:     by_value
      - .actual_access:  read_only
        .address_space:  global
        .offset:         16
        .size:           8
        .value_kind:     global_buffer
      - .actual_access:  read_only
        .address_space:  global
        .offset:         24
        .size:           8
        .value_kind:     global_buffer
      - .offset:         32
        .size:           8
        .value_kind:     by_value
      - .actual_access:  read_only
        .address_space:  global
        .offset:         40
        .size:           8
        .value_kind:     global_buffer
      - .actual_access:  read_only
        .address_space:  global
        .offset:         48
        .size:           8
        .value_kind:     global_buffer
      - .offset:         56
        .size:           4
        .value_kind:     by_value
      - .actual_access:  read_only
        .address_space:  global
        .offset:         64
        .size:           8
        .value_kind:     global_buffer
      - .actual_access:  read_only
        .address_space:  global
        .offset:         72
        .size:           8
        .value_kind:     global_buffer
      - .address_space:  global
        .offset:         80
        .size:           8
        .value_kind:     global_buffer
    .group_segment_fixed_size: 0
    .kernarg_segment_align: 8
    .kernarg_segment_size: 88
    .language:       OpenCL C
    .language_version:
      - 2
      - 0
    .max_flat_workgroup_size: 243
    .name:           fft_rtc_fwd_len1458_factors_6_3_3_3_3_3_wgs_243_tpt_243_halfLds_dp_ip_CI_unitstride_sbrr_C2R_dirReg
    .private_segment_fixed_size: 0
    .sgpr_count:     28
    .sgpr_spill_count: 0
    .symbol:         fft_rtc_fwd_len1458_factors_6_3_3_3_3_3_wgs_243_tpt_243_halfLds_dp_ip_CI_unitstride_sbrr_C2R_dirReg.kd
    .uniform_work_group_size: 1
    .uses_dynamic_stack: false
    .vgpr_count:     57
    .vgpr_spill_count: 0
    .wavefront_size: 64
amdhsa.target:   amdgcn-amd-amdhsa--gfx950
amdhsa.version:
  - 1
  - 2
...

	.end_amdgpu_metadata
